;; amdgpu-corpus repo=ROCm/rocFFT kind=compiled arch=gfx1030 opt=O3
	.text
	.amdgcn_target "amdgcn-amd-amdhsa--gfx1030"
	.amdhsa_code_object_version 6
	.protected	fft_rtc_fwd_len208_factors_13_16_wgs_144_tpt_16_dp_op_CI_CI_sbcc ; -- Begin function fft_rtc_fwd_len208_factors_13_16_wgs_144_tpt_16_dp_op_CI_CI_sbcc
	.globl	fft_rtc_fwd_len208_factors_13_16_wgs_144_tpt_16_dp_op_CI_CI_sbcc
	.p2align	8
	.type	fft_rtc_fwd_len208_factors_13_16_wgs_144_tpt_16_dp_op_CI_CI_sbcc,@function
fft_rtc_fwd_len208_factors_13_16_wgs_144_tpt_16_dp_op_CI_CI_sbcc: ; @fft_rtc_fwd_len208_factors_13_16_wgs_144_tpt_16_dp_op_CI_CI_sbcc
; %bb.0:
	s_clause 0x1
	s_load_dwordx4 s[16:19], s[4:5], 0x18
	s_load_dwordx2 s[26:27], s[4:5], 0x28
	s_mov_b64 s[20:21], 0
	s_waitcnt lgkmcnt(0)
	s_load_dwordx2 s[24:25], s[16:17], 0x8
	s_waitcnt lgkmcnt(0)
	s_add_u32 s0, s24, -1
	s_addc_u32 s1, s25, -1
	s_add_u32 s2, 0, 0x71c4fc00
	s_addc_u32 s3, 0, 0x7c
	s_mul_hi_u32 s8, s2, -9
	s_add_i32 s3, s3, 0x1c71c6a0
	s_sub_i32 s8, s8, s2
	s_mul_i32 s10, s3, -9
	s_mul_i32 s7, s2, -9
	s_add_i32 s8, s8, s10
	s_mul_hi_u32 s9, s2, s7
	s_mul_i32 s12, s2, s8
	s_mul_hi_u32 s10, s2, s8
	s_mul_hi_u32 s11, s3, s7
	s_mul_i32 s7, s3, s7
	s_add_u32 s9, s9, s12
	s_addc_u32 s10, 0, s10
	s_mul_hi_u32 s13, s3, s8
	s_add_u32 s7, s9, s7
	s_mul_i32 s8, s3, s8
	s_addc_u32 s7, s10, s11
	s_addc_u32 s9, s13, 0
	s_add_u32 s7, s7, s8
	v_add_co_u32 v1, s2, s2, s7
	s_addc_u32 s7, 0, s9
	s_cmp_lg_u32 s2, 0
	s_addc_u32 s2, s3, s7
	v_readfirstlane_b32 s3, v1
	s_mul_i32 s8, s0, s2
	s_mul_hi_u32 s7, s0, s2
	s_mul_hi_u32 s9, s1, s2
	s_mul_i32 s2, s1, s2
	s_mul_hi_u32 s10, s0, s3
	s_mul_hi_u32 s11, s1, s3
	s_mul_i32 s3, s1, s3
	s_add_u32 s8, s10, s8
	s_addc_u32 s7, 0, s7
	s_add_u32 s3, s8, s3
	s_addc_u32 s3, s7, s11
	s_addc_u32 s7, s9, 0
	s_add_u32 s2, s3, s2
	s_addc_u32 s3, 0, s7
	s_mul_i32 s8, s2, 9
	s_add_u32 s7, s2, 1
	v_sub_co_u32 v1, s0, s0, s8
	s_mul_hi_u32 s8, s2, 9
	s_addc_u32 s9, s3, 0
	s_mul_i32 s10, s3, 9
	v_sub_co_u32 v2, s11, v1, 9
	s_add_u32 s12, s2, 2
	s_addc_u32 s13, s3, 0
	s_add_i32 s8, s8, s10
	s_cmp_lg_u32 s0, 0
	v_readfirstlane_b32 s0, v2
	s_subb_u32 s1, s1, s8
	s_cmp_lg_u32 s11, 0
	s_subb_u32 s8, s1, 0
	s_cmp_gt_u32 s0, 8
	s_cselect_b32 s0, -1, 0
	s_cmp_eq_u32 s8, 0
	v_readfirstlane_b32 s8, v1
	s_cselect_b32 s0, s0, -1
	s_cmp_lg_u32 s0, 0
	s_cselect_b32 s0, s12, s7
	s_cselect_b32 s9, s13, s9
	s_cmp_gt_u32 s8, 8
	s_cselect_b32 s7, -1, 0
	s_cmp_eq_u32 s1, 0
	s_cselect_b32 s1, s7, -1
	s_mov_b32 s7, 0
	s_cmp_lg_u32 s1, 0
	s_cselect_b32 s0, s0, s2
	s_cselect_b32 s1, s9, s3
	s_add_u32 s30, s0, 1
	s_addc_u32 s31, s1, 0
	v_cmp_lt_u64_e64 s0, s[6:7], s[30:31]
	s_and_b32 vcc_lo, exec_lo, s0
	s_cbranch_vccnz .LBB0_2
; %bb.1:
	v_cvt_f32_u32_e32 v1, s30
	s_sub_i32 s1, 0, s30
	s_mov_b32 s21, s7
	v_rcp_iflag_f32_e32 v1, v1
	v_mul_f32_e32 v1, 0x4f7ffffe, v1
	v_cvt_u32_f32_e32 v1, v1
	v_readfirstlane_b32 s0, v1
	s_mul_i32 s1, s1, s0
	s_mul_hi_u32 s1, s0, s1
	s_add_i32 s0, s0, s1
	s_mul_hi_u32 s0, s6, s0
	s_mul_i32 s1, s0, s30
	s_add_i32 s2, s0, 1
	s_sub_i32 s1, s6, s1
	s_sub_i32 s3, s1, s30
	s_cmp_ge_u32 s1, s30
	s_cselect_b32 s0, s2, s0
	s_cselect_b32 s1, s3, s1
	s_add_i32 s2, s0, 1
	s_cmp_ge_u32 s1, s30
	s_cselect_b32 s20, s2, s0
.LBB0_2:
	s_load_dwordx4 s[12:15], s[18:19], 0x0
	s_load_dwordx4 s[0:3], s[26:27], 0x0
	s_clause 0x1
	s_load_dwordx2 s[34:35], s[4:5], 0x10
	s_load_dwordx2 s[22:23], s[4:5], 0x0
	s_mul_i32 s8, s20, s31
	s_mul_hi_u32 s9, s20, s30
	s_mul_i32 s10, s20, s30
	s_add_i32 s9, s9, s8
	s_sub_u32 s48, s6, s10
	s_subb_u32 s8, 0, s9
	s_mul_hi_u32 s33, s48, 9
	s_mul_i32 s28, s8, 9
	s_load_dwordx4 s[8:11], s[4:5], 0x60
	s_add_i32 s33, s33, s28
	s_mul_i32 s48, s48, 9
	s_waitcnt lgkmcnt(0)
	s_mul_i32 s4, s14, s33
	s_mul_hi_u32 s5, s14, s48
	v_cmp_lt_u64_e64 s38, s[34:35], 3
	s_mul_i32 s29, s2, s33
	s_mul_hi_u32 s36, s2, s48
	s_mul_i32 s28, s15, s48
	s_mul_i32 s37, s3, s48
	s_add_i32 s4, s5, s4
	s_add_i32 s5, s36, s29
	;; [unrolled: 1-line block ×3, first 2 shown]
	s_mul_i32 s28, s14, s48
	s_add_i32 s5, s5, s37
	s_and_b32 vcc_lo, exec_lo, s38
	s_mul_i32 s4, s2, s48
	s_cbranch_vccnz .LBB0_12
; %bb.3:
	s_add_u32 s36, s26, 16
	s_addc_u32 s37, s27, 0
	s_add_u32 s38, s18, 16
	s_addc_u32 s39, s19, 0
	;; [unrolled: 2-line block ×3, first 2 shown]
	s_mov_b64 s[40:41], 2
	s_mov_b32 s42, 0
.LBB0_4:                                ; =>This Inner Loop Header: Depth=1
	s_load_dwordx2 s[44:45], s[16:17], 0x0
	s_waitcnt lgkmcnt(0)
	s_or_b64 s[46:47], s[20:21], s[44:45]
	s_mov_b32 s43, s47
                                        ; implicit-def: $sgpr46_sgpr47
	s_cmp_lg_u64 s[42:43], 0
	s_mov_b32 s43, -1
	s_cbranch_scc0 .LBB0_6
; %bb.5:                                ;   in Loop: Header=BB0_4 Depth=1
	v_cvt_f32_u32_e32 v1, s44
	v_cvt_f32_u32_e32 v2, s45
	s_sub_u32 s47, 0, s44
	s_subb_u32 s49, 0, s45
	v_fmac_f32_e32 v1, 0x4f800000, v2
	v_rcp_f32_e32 v1, v1
	v_mul_f32_e32 v1, 0x5f7ffffc, v1
	v_mul_f32_e32 v2, 0x2f800000, v1
	v_trunc_f32_e32 v2, v2
	v_fmac_f32_e32 v1, 0xcf800000, v2
	v_cvt_u32_f32_e32 v2, v2
	v_cvt_u32_f32_e32 v1, v1
	v_readfirstlane_b32 s43, v2
	v_readfirstlane_b32 s46, v1
	s_mul_i32 s50, s47, s43
	s_mul_hi_u32 s52, s47, s46
	s_mul_i32 s51, s49, s46
	s_add_i32 s50, s52, s50
	s_mul_i32 s53, s47, s46
	s_add_i32 s50, s50, s51
	s_mul_hi_u32 s52, s46, s53
	s_mul_hi_u32 s54, s43, s53
	s_mul_i32 s51, s43, s53
	s_mul_hi_u32 s53, s46, s50
	s_mul_i32 s46, s46, s50
	s_mul_hi_u32 s55, s43, s50
	s_add_u32 s46, s52, s46
	s_addc_u32 s52, 0, s53
	s_add_u32 s46, s46, s51
	s_mul_i32 s50, s43, s50
	s_addc_u32 s46, s52, s54
	s_addc_u32 s51, s55, 0
	s_add_u32 s46, s46, s50
	s_addc_u32 s50, 0, s51
	v_add_co_u32 v1, s46, v1, s46
	s_cmp_lg_u32 s46, 0
	s_addc_u32 s43, s43, s50
	v_readfirstlane_b32 s46, v1
	s_mul_i32 s50, s47, s43
	s_mul_hi_u32 s51, s47, s46
	s_mul_i32 s49, s49, s46
	s_add_i32 s50, s51, s50
	s_mul_i32 s47, s47, s46
	s_add_i32 s50, s50, s49
	s_mul_hi_u32 s51, s43, s47
	s_mul_i32 s52, s43, s47
	s_mul_hi_u32 s47, s46, s47
	s_mul_hi_u32 s53, s46, s50
	s_mul_i32 s46, s46, s50
	s_mul_hi_u32 s49, s43, s50
	s_add_u32 s46, s47, s46
	s_addc_u32 s47, 0, s53
	s_add_u32 s46, s46, s52
	s_mul_i32 s50, s43, s50
	s_addc_u32 s46, s47, s51
	s_addc_u32 s47, s49, 0
	s_add_u32 s46, s46, s50
	s_addc_u32 s47, 0, s47
	v_add_co_u32 v1, s46, v1, s46
	s_cmp_lg_u32 s46, 0
	s_addc_u32 s43, s43, s47
	v_readfirstlane_b32 s46, v1
	s_mul_i32 s49, s20, s43
	s_mul_hi_u32 s47, s20, s43
	s_mul_hi_u32 s50, s21, s43
	s_mul_i32 s43, s21, s43
	s_mul_hi_u32 s51, s20, s46
	s_mul_hi_u32 s52, s21, s46
	s_mul_i32 s46, s21, s46
	s_add_u32 s49, s51, s49
	s_addc_u32 s47, 0, s47
	s_add_u32 s46, s49, s46
	s_addc_u32 s46, s47, s52
	s_addc_u32 s47, s50, 0
	s_add_u32 s46, s46, s43
	s_addc_u32 s47, 0, s47
	s_mul_hi_u32 s43, s44, s46
	s_mul_i32 s50, s44, s47
	s_mul_i32 s51, s44, s46
	s_add_i32 s43, s43, s50
	v_sub_co_u32 v1, s50, s20, s51
	s_mul_i32 s49, s45, s46
	s_add_i32 s43, s43, s49
	v_sub_co_u32 v2, s51, v1, s44
	s_sub_i32 s49, s21, s43
	s_cmp_lg_u32 s50, 0
	s_subb_u32 s49, s49, s45
	s_cmp_lg_u32 s51, 0
	v_readfirstlane_b32 s51, v2
	s_subb_u32 s49, s49, 0
	s_cmp_ge_u32 s49, s45
	s_cselect_b32 s52, -1, 0
	s_cmp_ge_u32 s51, s44
	s_cselect_b32 s51, -1, 0
	s_cmp_eq_u32 s49, s45
	s_cselect_b32 s49, s51, s52
	s_add_u32 s51, s46, 1
	s_addc_u32 s52, s47, 0
	s_add_u32 s53, s46, 2
	s_addc_u32 s54, s47, 0
	s_cmp_lg_u32 s49, 0
	s_cselect_b32 s49, s53, s51
	s_cselect_b32 s51, s54, s52
	s_cmp_lg_u32 s50, 0
	v_readfirstlane_b32 s50, v1
	s_subb_u32 s43, s21, s43
	s_cmp_ge_u32 s43, s45
	s_cselect_b32 s52, -1, 0
	s_cmp_ge_u32 s50, s44
	s_cselect_b32 s50, -1, 0
	s_cmp_eq_u32 s43, s45
	s_cselect_b32 s43, s50, s52
	s_cmp_lg_u32 s43, 0
	s_mov_b32 s43, 0
	s_cselect_b32 s47, s51, s47
	s_cselect_b32 s46, s49, s46
.LBB0_6:                                ;   in Loop: Header=BB0_4 Depth=1
	s_andn2_b32 vcc_lo, exec_lo, s43
	s_cbranch_vccnz .LBB0_8
; %bb.7:                                ;   in Loop: Header=BB0_4 Depth=1
	v_cvt_f32_u32_e32 v1, s44
	s_sub_i32 s46, 0, s44
	v_rcp_iflag_f32_e32 v1, v1
	v_mul_f32_e32 v1, 0x4f7ffffe, v1
	v_cvt_u32_f32_e32 v1, v1
	v_readfirstlane_b32 s43, v1
	s_mul_i32 s46, s46, s43
	s_mul_hi_u32 s46, s43, s46
	s_add_i32 s43, s43, s46
	s_mul_hi_u32 s43, s20, s43
	s_mul_i32 s46, s43, s44
	s_add_i32 s47, s43, 1
	s_sub_i32 s46, s20, s46
	s_sub_i32 s49, s46, s44
	s_cmp_ge_u32 s46, s44
	s_cselect_b32 s43, s47, s43
	s_cselect_b32 s46, s49, s46
	s_add_i32 s47, s43, 1
	s_cmp_ge_u32 s46, s44
	s_cselect_b32 s46, s47, s43
	s_mov_b32 s47, s42
.LBB0_8:                                ;   in Loop: Header=BB0_4 Depth=1
	s_load_dwordx2 s[50:51], s[38:39], 0x0
	s_load_dwordx2 s[52:53], s[36:37], 0x0
	s_mul_i32 s31, s44, s31
	s_mul_hi_u32 s43, s44, s30
	s_mul_i32 s49, s45, s30
	s_mul_i32 s45, s46, s45
	s_mul_hi_u32 s54, s46, s44
	s_mul_i32 s55, s47, s44
	s_add_i32 s31, s43, s31
	s_add_i32 s43, s54, s45
	s_mul_i32 s56, s46, s44
	s_add_i32 s31, s31, s49
	s_add_i32 s43, s43, s55
	s_sub_u32 s20, s20, s56
	s_subb_u32 s21, s21, s43
	s_mul_i32 s30, s44, s30
	s_waitcnt lgkmcnt(0)
	s_mul_i32 s43, s50, s21
	s_mul_hi_u32 s45, s50, s20
	s_mul_i32 s49, s51, s20
	s_add_i32 s43, s45, s43
	s_mul_i32 s50, s50, s20
	s_mul_i32 s21, s52, s21
	s_mul_hi_u32 s45, s52, s20
	s_add_i32 s43, s43, s49
	s_add_u32 s28, s50, s28
	s_addc_u32 s29, s43, s29
	s_add_i32 s21, s45, s21
	s_mul_i32 s43, s53, s20
	s_mul_i32 s20, s52, s20
	s_add_i32 s21, s21, s43
	s_add_u32 s4, s20, s4
	s_addc_u32 s5, s21, s5
	s_add_u32 s40, s40, 1
	s_addc_u32 s41, s41, 0
	s_add_u32 s36, s36, 8
	v_cmp_ge_u64_e64 s20, s[40:41], s[34:35]
	s_addc_u32 s37, s37, 0
	s_add_u32 s38, s38, 8
	s_addc_u32 s39, s39, 0
	s_add_u32 s16, s16, 8
	s_addc_u32 s17, s17, 0
	s_and_b32 vcc_lo, exec_lo, s20
	s_cbranch_vccnz .LBB0_10
; %bb.9:                                ;   in Loop: Header=BB0_4 Depth=1
	s_mov_b64 s[20:21], s[46:47]
	s_branch .LBB0_4
.LBB0_10:
	v_cmp_lt_u64_e64 s7, s[6:7], s[30:31]
	s_mov_b64 s[20:21], 0
	s_and_b32 vcc_lo, exec_lo, s7
	s_cbranch_vccnz .LBB0_12
; %bb.11:
	v_cvt_f32_u32_e32 v1, s30
	s_sub_i32 s16, 0, s30
	v_rcp_iflag_f32_e32 v1, v1
	v_mul_f32_e32 v1, 0x4f7ffffe, v1
	v_cvt_u32_f32_e32 v1, v1
	v_readfirstlane_b32 s7, v1
	s_mul_i32 s16, s16, s7
	s_mul_hi_u32 s16, s7, s16
	s_add_i32 s7, s7, s16
	s_mul_hi_u32 s7, s6, s7
	s_mul_i32 s16, s7, s30
	s_sub_i32 s6, s6, s16
	s_add_i32 s16, s7, 1
	s_sub_i32 s17, s6, s30
	s_cmp_ge_u32 s6, s30
	s_cselect_b32 s7, s16, s7
	s_cselect_b32 s6, s17, s6
	s_add_i32 s16, s7, 1
	s_cmp_ge_u32 s6, s30
	s_cselect_b32 s20, s16, s7
.LBB0_12:
	v_mul_u32_u24_e32 v1, 0x1c72, v0
	s_lshl_b64 s[16:17], s[34:35], 3
	s_add_u32 s6, s26, s16
	s_addc_u32 s7, s27, s17
	v_lshrrev_b32_e32 v75, 16, v1
	s_add_u32 s26, s48, 9
	s_addc_u32 s27, s33, 0
	v_cmp_le_u64_e64 s21, s[26:27], s[24:25]
	v_mul_lo_u16 v1, v75, 9
	v_lshlrev_b32_e32 v76, 4, v75
	v_add_nc_u32_e32 v77, 16, v75
	v_or_b32_e32 v74, 32, v75
	v_add_nc_u32_e32 v73, 48, v75
	v_sub_nc_u16 v1, v0, v1
	v_or_b32_e32 v72, 64, v75
	v_add_nc_u32_e32 v71, 0x50, v75
	v_or_b32_e32 v70, 0x60, v75
	v_add_nc_u32_e32 v69, 0x70, v75
	v_and_b32_e32 v79, 0xffff, v1
	v_or_b32_e32 v68, 0x80, v75
	v_add_nc_u32_e32 v67, 0x90, v75
	v_or_b32_e32 v65, 0xa0, v75
	v_add_nc_u32_e32 v66, 0xb0, v75
	v_add_co_u32 v1, s26, s48, v79
	v_add_co_ci_u32_e64 v2, null, s33, 0, s26
	v_mul_u32_u24_e32 v78, 0xd00, v79
	v_or_b32_e32 v64, 0xc0, v75
	v_cmp_gt_u64_e32 vcc_lo, s[24:25], v[1:2]
	s_or_b32 s21, s21, vcc_lo
	s_and_saveexec_b32 s24, s21
	s_cbranch_execz .LBB0_14
; %bb.13:
	s_add_u32 s16, s18, s16
	s_addc_u32 s17, s19, s17
	v_mad_u64_u32 v[1:2], null, s14, v79, 0
	s_load_dwordx2 s[16:17], s[16:17], 0x0
	v_mad_u64_u32 v[3:4], null, s12, v75, 0
	v_mad_u64_u32 v[5:6], null, s12, v77, 0
	v_mad_u64_u32 v[7:8], null, s12, v74, 0
	v_mad_u64_u32 v[13:14], null, s12, v72, 0
	v_mad_u64_u32 v[9:10], null, s15, v79, v[2:3]
	v_mad_u64_u32 v[10:11], null, s13, v75, v[4:5]
	v_mad_u64_u32 v[11:12], null, s13, v77, v[6:7]
	v_mad_u64_u32 v[15:16], null, s12, v71, 0
	v_mov_b32_e32 v2, v9
	v_mad_u64_u32 v[17:18], null, s12, v70, 0
	s_waitcnt lgkmcnt(0)
	s_mul_i32 s15, s17, s20
	v_mov_b32_e32 v6, v11
	v_mad_u64_u32 v[11:12], null, s12, v73, 0
	s_mul_hi_u32 s17, s16, s20
	s_mul_i32 s14, s16, s20
	s_add_i32 s15, s17, s15
	v_mad_u64_u32 v[21:22], null, s12, v68, 0
	s_lshl_b64 s[14:15], s[14:15], 4
	v_mad_u64_u32 v[19:20], null, s12, v69, 0
	v_mad_u64_u32 v[23:24], null, s12, v67, 0
	v_mov_b32_e32 v4, v10
	v_lshlrev_b64 v[1:2], 4, v[1:2]
	s_add_u32 s14, s8, s14
	v_mad_u64_u32 v[31:32], null, s13, v73, v[12:13]
	s_addc_u32 s15, s9, s15
	s_lshl_b64 s[8:9], s[28:29], 4
	v_mad_u64_u32 v[8:9], null, s13, v74, v[8:9]
	v_mad_u64_u32 v[29:30], null, s12, v64, 0
	s_add_u32 s8, s14, s8
	v_mad_u64_u32 v[32:33], null, s13, v72, v[14:15]
	v_lshlrev_b64 v[3:4], 4, v[3:4]
	v_mad_u64_u32 v[25:26], null, s12, v65, 0
	s_addc_u32 s9, s15, s9
	v_add_co_u32 v49, vcc_lo, s8, v1
	v_mad_u64_u32 v[27:28], null, s12, v66, 0
	v_mad_u64_u32 v[33:34], null, s13, v71, v[16:17]
	v_mov_b32_e32 v16, v22
	v_mad_u64_u32 v[34:35], null, s13, v70, v[18:19]
	v_mov_b32_e32 v18, v24
	v_add_co_ci_u32_e32 v50, vcc_lo, s9, v2, vcc_lo
	v_lshlrev_b64 v[1:2], 4, v[5:6]
	v_mov_b32_e32 v12, v31
	v_add_co_u32 v3, vcc_lo, v49, v3
	v_lshlrev_b64 v[5:6], 4, v[7:8]
	v_mov_b32_e32 v24, v30
	v_mad_u64_u32 v[30:31], null, s13, v68, v[16:17]
	v_mov_b32_e32 v14, v32
	v_mad_u64_u32 v[31:32], null, s13, v67, v[18:19]
	v_add_co_ci_u32_e32 v4, vcc_lo, v50, v4, vcc_lo
	v_mad_u64_u32 v[35:36], null, s13, v69, v[20:21]
	v_mov_b32_e32 v20, v26
	v_add_co_u32 v7, vcc_lo, v49, v1
	v_mov_b32_e32 v22, v28
	v_lshlrev_b64 v[11:12], 4, v[11:12]
	v_mov_b32_e32 v16, v33
	v_add_co_ci_u32_e32 v8, vcc_lo, v50, v2, vcc_lo
	v_add_co_u32 v9, vcc_lo, v49, v5
	v_lshlrev_b64 v[13:14], 4, v[13:14]
	v_mad_u64_u32 v[36:37], null, s13, v65, v[20:21]
	v_mov_b32_e32 v18, v34
	v_add_co_ci_u32_e32 v10, vcc_lo, v50, v6, vcc_lo
	v_mad_u64_u32 v[37:38], null, s13, v66, v[22:23]
	v_mad_u64_u32 v[38:39], null, s13, v64, v[24:25]
	v_mov_b32_e32 v24, v31
	v_lshlrev_b64 v[15:16], 4, v[15:16]
	v_add_co_u32 v31, vcc_lo, v49, v11
	v_mov_b32_e32 v20, v35
	v_add_co_ci_u32_e32 v32, vcc_lo, v50, v12, vcc_lo
	v_lshlrev_b64 v[17:18], 4, v[17:18]
	v_add_co_u32 v33, vcc_lo, v49, v13
	v_mov_b32_e32 v22, v30
	v_add_co_ci_u32_e32 v34, vcc_lo, v50, v14, vcc_lo
	;; [unrolled: 4-line block ×3, first 2 shown]
	v_mov_b32_e32 v28, v37
	v_lshlrev_b64 v[21:22], 4, v[21:22]
	v_add_co_u32 v37, vcc_lo, v49, v17
	v_mov_b32_e32 v30, v38
	v_add_co_ci_u32_e32 v38, vcc_lo, v50, v18, vcc_lo
	v_lshlrev_b64 v[23:24], 4, v[23:24]
	v_add_co_u32 v39, vcc_lo, v49, v19
	v_add_co_ci_u32_e32 v40, vcc_lo, v50, v20, vcc_lo
	v_lshlrev_b64 v[25:26], 4, v[25:26]
	v_add_co_u32 v41, vcc_lo, v49, v21
	v_add_co_ci_u32_e32 v42, vcc_lo, v50, v22, vcc_lo
	v_lshlrev_b64 v[27:28], 4, v[27:28]
	v_add_co_u32 v43, vcc_lo, v49, v23
	v_add_co_ci_u32_e32 v44, vcc_lo, v50, v24, vcc_lo
	v_lshlrev_b64 v[29:30], 4, v[29:30]
	v_add_co_u32 v45, vcc_lo, v49, v25
	v_add_co_ci_u32_e32 v46, vcc_lo, v50, v26, vcc_lo
	v_add_co_u32 v47, vcc_lo, v49, v27
	v_add_co_ci_u32_e32 v48, vcc_lo, v50, v28, vcc_lo
	v_add_co_u32 v49, vcc_lo, v49, v29
	v_add_co_ci_u32_e32 v50, vcc_lo, v50, v30, vcc_lo
	s_clause 0xc
	global_load_dwordx4 v[1:4], v[3:4], off
	global_load_dwordx4 v[5:8], v[7:8], off
	;; [unrolled: 1-line block ×13, first 2 shown]
	v_add3_u32 v53, 0, v78, v76
	s_waitcnt vmcnt(12)
	ds_write_b128 v53, v[1:4]
	s_waitcnt vmcnt(11)
	ds_write_b128 v53, v[5:8] offset:256
	s_waitcnt vmcnt(10)
	ds_write_b128 v53, v[9:12] offset:512
	;; [unrolled: 2-line block ×12, first 2 shown]
.LBB0_14:
	s_or_b32 exec_lo, exec_lo, s24
	s_add_u32 s8, 0, 0x71c4fc00
	s_addc_u32 s9, 0, 0x7c
	s_mul_hi_u32 s13, s8, -9
	s_add_i32 s9, s9, 0x1c71c6a0
	s_sub_i32 s13, s13, s8
	s_mul_i32 s14, s9, -9
	s_mul_i32 s12, s8, -9
	s_add_i32 s13, s13, s14
	s_mul_hi_u32 s15, s9, s12
	s_mul_i32 s14, s9, s12
	s_mul_i32 s16, s8, s13
	s_mul_hi_u32 s12, s8, s12
	s_mul_hi_u32 s17, s8, s13
	s_add_u32 s12, s12, s16
	s_addc_u32 s16, 0, s17
	s_mul_hi_u32 s17, s9, s13
	s_add_u32 s12, s12, s14
	s_addc_u32 s12, s16, s15
	s_mul_i32 s13, s9, s13
	v_lshrrev_b32_e32 v1, 4, v0
	s_addc_u32 s14, s17, 0
	s_add_u32 s12, s12, s13
	v_and_b32_e32 v82, 15, v0
	v_add_co_u32 v3, s8, s8, s12
	s_addc_u32 s12, 0, s14
	s_cmp_lg_u32 s8, 0
	v_add_co_u32 v5, s8, s48, v1
	v_add_co_ci_u32_e64 v6, null, s33, 0, s8
	s_addc_u32 s8, s9, s12
	v_mul_hi_u32 v7, v5, v3
	v_mad_u64_u32 v[1:2], null, v5, s8, 0
	v_mad_u64_u32 v[3:4], null, v6, v3, 0
	s_load_dwordx2 s[6:7], s[6:7], 0x0
	s_waitcnt lgkmcnt(0)
	s_barrier
	buffer_gl0_inv
	v_add_co_u32 v7, vcc_lo, v7, v1
	v_add_co_ci_u32_e32 v8, vcc_lo, 0, v2, vcc_lo
	v_mad_u64_u32 v[1:2], null, v6, s8, 0
	v_add_co_u32 v3, vcc_lo, v7, v3
	v_add_co_ci_u32_e32 v3, vcc_lo, v8, v4, vcc_lo
	s_mov_b32 s30, 0x42a4c3d2
	s_mov_b32 s38, 0x66966769
	v_add_co_ci_u32_e32 v2, vcc_lo, 0, v2, vcc_lo
	v_add_co_u32 v1, vcc_lo, v3, v1
	s_mov_b32 s24, 0x2ef20147
	v_add_co_ci_u32_e32 v3, vcc_lo, 0, v2, vcc_lo
	v_mad_u64_u32 v[1:2], null, v1, 9, 0
	s_mov_b32 s34, 0x24c2f84
	s_mov_b32 s42, 0x4bc48dbf
	;; [unrolled: 1-line block ×6, first 2 shown]
	v_mad_u64_u32 v[2:3], null, v3, 9, v[2:3]
	v_sub_co_u32 v1, vcc_lo, v5, v1
	s_mov_b32 s25, 0xbfedeba7
	s_mov_b32 s35, 0xbfe5384d
	;; [unrolled: 1-line block ×4, first 2 shown]
	v_sub_co_ci_u32_e32 v2, vcc_lo, v6, v2, vcc_lo
	v_sub_co_u32 v3, vcc_lo, v1, 9
	s_mov_b32 s8, 0x1ea71119
	v_subrev_co_ci_u32_e32 v4, vcc_lo, 0, v2, vcc_lo
	v_cmp_lt_u32_e32 vcc_lo, 8, v3
	s_mov_b32 s12, 0xebaa3ed8
	s_mov_b32 s16, 0xb2365da1
	;; [unrolled: 1-line block ×4, first 2 shown]
	v_cndmask_b32_e64 v5, 0, -1, vcc_lo
	v_cmp_lt_u32_e32 vcc_lo, 8, v1
	s_mov_b32 s27, 0x3fec55a7
	s_mov_b32 s9, 0x3fe22d96
	;; [unrolled: 1-line block ×4, first 2 shown]
	v_cndmask_b32_e64 v6, 0, -1, vcc_lo
	v_cmp_eq_u32_e32 vcc_lo, 0, v4
	s_mov_b32 s19, 0xbfe7f3cc
	s_mov_b32 s15, 0xbfef11f4
	;; [unrolled: 1-line block ×4, first 2 shown]
	v_cndmask_b32_e32 v4, -1, v5, vcc_lo
	v_cmp_eq_u32_e32 vcc_lo, 0, v2
	v_add_nc_u32_e32 v5, -9, v3
	s_mov_b32 s45, 0x3fedeba7
	s_mov_b32 s44, s24
	;; [unrolled: 1-line block ×3, first 2 shown]
	v_cndmask_b32_e32 v2, -1, v6, vcc_lo
	v_cmp_ne_u32_e32 vcc_lo, 0, v4
	s_mov_b32 s36, s38
	s_mov_b32 s41, 0x3fcea1e5
	;; [unrolled: 1-line block ×3, first 2 shown]
	v_cndmask_b32_e32 v3, v3, v5, vcc_lo
	v_cmp_ne_u32_e32 vcc_lo, 0, v2
	v_cndmask_b32_e32 v1, v1, v3, vcc_lo
	v_cmp_gt_u32_e32 vcc_lo, 13, v82
	v_mul_u32_u24_e32 v1, 0xd0, v1
	v_lshlrev_b32_e32 v0, 4, v1
	v_lshlrev_b32_e32 v1, 4, v82
	v_add_nc_u32_e32 v52, 0, v0
	v_add3_u32 v81, 0, v1, v0
	v_add_nc_u32_e32 v80, v52, v1
	ds_read_b128 v[0:3], v80
	ds_read_b128 v[4:7], v81 offset:256
	ds_read_b128 v[8:11], v81 offset:512
	;; [unrolled: 1-line block ×3, first 2 shown]
	s_waitcnt lgkmcnt(2)
	v_add_f64 v[16:17], v[0:1], v[4:5]
	v_add_f64 v[18:19], v[2:3], v[6:7]
	s_waitcnt lgkmcnt(1)
	v_add_f64 v[16:17], v[16:17], v[8:9]
	v_add_f64 v[18:19], v[18:19], v[10:11]
	;; [unrolled: 3-line block ×3, first 2 shown]
	ds_read_b128 v[20:23], v81 offset:1024
	ds_read_b128 v[16:19], v81 offset:1280
	s_waitcnt lgkmcnt(1)
	v_add_f64 v[24:25], v[24:25], v[20:21]
	v_add_f64 v[26:27], v[26:27], v[22:23]
	s_waitcnt lgkmcnt(0)
	v_add_f64 v[48:49], v[24:25], v[16:17]
	v_add_f64 v[50:51], v[26:27], v[18:19]
	ds_read_b128 v[24:27], v81 offset:1536
	ds_read_b128 v[28:31], v81 offset:2048
	;; [unrolled: 1-line block ×6, first 2 shown]
	s_waitcnt lgkmcnt(4)
	v_add_f64 v[89:90], v[16:17], v[28:29]
	v_add_f64 v[53:54], v[48:49], v[24:25]
	;; [unrolled: 1-line block ×3, first 2 shown]
	ds_read_b128 v[48:51], v81 offset:3072
	s_waitcnt lgkmcnt(2)
	v_add_f64 v[83:84], v[8:9], -v[40:41]
	s_waitcnt lgkmcnt(1)
	v_add_f64 v[95:96], v[24:25], -v[44:45]
	v_add_f64 v[24:25], v[24:25], v[44:45]
	v_add_f64 v[97:98], v[8:9], v[40:41]
	v_add_f64 v[16:17], v[16:17], -v[28:29]
	v_add_f64 v[93:94], v[26:27], -v[46:47]
	v_add_f64 v[26:27], v[26:27], v[46:47]
	v_add_f64 v[61:62], v[10:11], -v[42:43]
	v_add_f64 v[91:92], v[18:19], v[30:31]
	;; [unrolled: 2-line block ×3, first 2 shown]
	v_add_f64 v[59:60], v[22:23], v[34:35]
	v_add_f64 v[20:21], v[20:21], -v[32:33]
	v_add_f64 v[22:23], v[22:23], -v[34:35]
	;; [unrolled: 1-line block ×4, first 2 shown]
	v_add_f64 v[12:13], v[12:13], v[36:37]
	v_add_f64 v[14:15], v[14:15], v[38:39]
	;; [unrolled: 1-line block ×5, first 2 shown]
	s_waitcnt lgkmcnt(0)
	v_add_f64 v[46:47], v[6:7], -v[50:51]
	v_add_f64 v[53:54], v[4:5], v[48:49]
	v_add_f64 v[4:5], v[4:5], -v[48:49]
	v_add_f64 v[6:7], v[6:7], v[50:51]
	v_mul_f64 v[99:100], v[83:84], s[30:31]
	v_mul_f64 v[119:120], v[83:84], s[24:25]
	;; [unrolled: 1-line block ×16, first 2 shown]
	v_add_f64 v[8:9], v[8:9], v[28:29]
	v_add_f64 v[28:29], v[44:45], v[30:31]
	v_mul_f64 v[30:31], v[46:47], s[28:29]
	v_mul_f64 v[127:128], v[46:47], s[30:31]
	;; [unrolled: 1-line block ×12, first 2 shown]
	v_fma_f64 v[153:154], v[97:98], s[8:9], -v[55:56]
	v_fma_f64 v[155:156], v[10:11], s[8:9], v[99:100]
	v_fma_f64 v[157:158], v[97:98], s[16:17], -v[117:118]
	v_fma_f64 v[117:118], v[97:98], s[16:17], v[117:118]
	s_mov_b32 s29, 0x3fddbe06
	v_mul_f64 v[44:45], v[20:21], s[46:47]
	v_mul_f64 v[111:112], v[16:17], s[34:35]
	;; [unrolled: 1-line block ×3, first 2 shown]
	v_add_f64 v[8:9], v[8:9], v[32:33]
	v_add_f64 v[28:29], v[28:29], v[34:35]
	v_fma_f64 v[32:33], v[53:54], s[26:27], -v[30:31]
	v_fma_f64 v[30:31], v[53:54], s[26:27], v[30:31]
	v_fma_f64 v[34:35], v[53:54], s[8:9], -v[127:128]
	v_fma_f64 v[127:128], v[53:54], s[8:9], v[127:128]
	;; [unrolled: 2-line block ×4, first 2 shown]
	v_fma_f64 v[163:164], v[6:7], s[26:27], v[139:140]
	v_fma_f64 v[165:166], v[53:54], s[18:19], -v[141:142]
	v_fma_f64 v[139:140], v[6:7], s[26:27], -v[139:140]
	v_fma_f64 v[141:142], v[53:54], s[18:19], v[141:142]
	v_fma_f64 v[167:168], v[6:7], s[8:9], v[145:146]
	v_fma_f64 v[169:170], v[53:54], s[14:15], -v[46:47]
	v_fma_f64 v[145:146], v[6:7], s[8:9], -v[145:146]
	v_fma_f64 v[46:47], v[53:54], s[14:15], v[46:47]
	v_fma_f64 v[53:54], v[6:7], s[12:13], v[147:148]
	v_fma_f64 v[147:148], v[6:7], s[12:13], -v[147:148]
	v_fma_f64 v[171:172], v[6:7], s[16:17], v[149:150]
	v_fma_f64 v[149:150], v[6:7], s[16:17], -v[149:150]
	v_add_f64 v[8:9], v[8:9], v[36:37]
	v_add_f64 v[28:29], v[28:29], v[38:39]
	v_fma_f64 v[36:37], v[6:7], s[18:19], v[151:152]
	v_fma_f64 v[38:39], v[6:7], s[18:19], -v[151:152]
	v_fma_f64 v[151:152], v[6:7], s[14:15], v[4:5]
	v_fma_f64 v[4:5], v[6:7], s[14:15], -v[4:5]
	;; [unrolled: 2-line block ×3, first 2 shown]
	v_add_f64 v[32:33], v[0:1], v[32:33]
	v_add_f64 v[30:31], v[0:1], v[30:31]
	;; [unrolled: 1-line block ×24, first 2 shown]
	v_fma_f64 v[0:1], v[97:98], s[14:15], -v[129:130]
	v_fma_f64 v[2:3], v[10:11], s[14:15], v[133:134]
	v_add_f64 v[8:9], v[8:9], v[40:41]
	v_add_f64 v[28:29], v[28:29], v[42:43]
	v_fma_f64 v[40:41], v[97:98], s[14:15], v[129:130]
	v_mul_f64 v[42:43], v[85:86], s[44:45]
	v_fma_f64 v[129:130], v[10:11], s[14:15], -v[133:134]
	v_add_f64 v[32:33], v[153:154], v[32:33]
	v_mul_f64 v[133:134], v[87:88], s[44:45]
	v_add_f64 v[153:154], v[155:156], v[163:164]
	v_fma_f64 v[155:156], v[97:98], s[18:19], -v[137:138]
	v_add_f64 v[34:35], v[157:158], v[34:35]
	v_fma_f64 v[157:158], v[10:11], s[18:19], v[143:144]
	v_fma_f64 v[137:138], v[97:98], s[18:19], v[137:138]
	v_add_f64 v[6:7], v[6:7], v[167:168]
	v_fma_f64 v[163:164], v[12:13], s[12:13], -v[101:102]
	v_add_f64 v[117:118], v[117:118], v[127:128]
	v_fma_f64 v[127:128], v[14:15], s[12:13], v[103:104]
	v_add_f64 v[119:120], v[119:120], v[145:146]
	v_mul_f64 v[145:146], v[85:86], s[28:29]
	v_fma_f64 v[143:144], v[10:11], s[18:19], -v[143:144]
	v_mul_f64 v[4:5], v[18:19], s[36:37]
	v_add_f64 v[0:1], v[0:1], v[159:160]
	v_fma_f64 v[159:160], v[12:13], s[14:15], -v[121:122]
	v_add_f64 v[2:3], v[2:3], v[53:54]
	v_fma_f64 v[53:54], v[14:15], s[14:15], v[123:124]
	v_fma_f64 v[121:122], v[12:13], s[14:15], v[121:122]
	v_fma_f64 v[123:124], v[14:15], s[14:15], -v[123:124]
	v_add_f64 v[40:41], v[40:41], v[131:132]
	v_mul_f64 v[131:132], v[22:23], s[28:29]
	v_add_f64 v[129:130], v[129:130], v[147:148]
	v_mul_f64 v[147:148], v[20:21], s[28:29]
	v_add_f64 v[155:156], v[155:156], v[161:162]
	v_fma_f64 v[161:162], v[12:13], s[16:17], -v[42:43]
	v_fma_f64 v[167:168], v[14:15], s[16:17], v[133:134]
	v_add_f64 v[135:136], v[137:138], v[135:136]
	v_mul_f64 v[137:138], v[87:88], s[28:29]
	v_fma_f64 v[42:43], v[12:13], s[16:17], v[42:43]
	v_add_f64 v[32:33], v[163:164], v[32:33]
	v_fma_f64 v[163:164], v[57:58], s[16:17], -v[105:106]
	v_add_f64 v[127:128], v[127:128], v[153:154]
	v_fma_f64 v[153:154], v[59:60], s[16:17], v[107:108]
	v_fma_f64 v[133:134], v[14:15], s[16:17], -v[133:134]
	v_add_f64 v[143:144], v[143:144], v[149:150]
	v_fma_f64 v[149:150], v[12:13], s[26:27], -v[145:146]
	v_add_f64 v[34:35], v[159:160], v[34:35]
	v_mul_f64 v[159:160], v[16:17], s[36:37]
	v_add_f64 v[6:7], v[53:54], v[6:7]
	v_fma_f64 v[53:54], v[57:58], s[18:19], -v[125:126]
	v_add_f64 v[117:118], v[121:122], v[117:118]
	v_fma_f64 v[121:122], v[59:60], s[18:19], v[44:45]
	v_fma_f64 v[125:126], v[57:58], s[18:19], v[125:126]
	v_add_f64 v[119:120], v[123:124], v[119:120]
	v_fma_f64 v[44:45], v[59:60], s[18:19], -v[44:45]
	v_mul_f64 v[115:116], v[95:96], s[42:43]
	v_add_f64 v[157:158], v[157:158], v[171:172]
	v_mul_f64 v[123:124], v[18:19], s[30:31]
	v_add_f64 v[0:1], v[161:162], v[0:1]
	v_add_f64 v[2:3], v[167:168], v[2:3]
	v_fma_f64 v[167:168], v[57:58], s[26:27], -v[131:132]
	v_add_f64 v[40:41], v[42:43], v[40:41]
	v_fma_f64 v[42:43], v[59:60], s[26:27], v[147:148]
	v_add_f64 v[32:33], v[163:164], v[32:33]
	v_fma_f64 v[163:164], v[89:90], s[18:19], -v[109:110]
	v_add_f64 v[127:128], v[153:154], v[127:128]
	v_fma_f64 v[153:154], v[91:92], s[18:19], v[111:112]
	v_add_f64 v[129:130], v[133:134], v[129:130]
	v_fma_f64 v[133:134], v[14:15], s[26:27], v[137:138]
	v_add_f64 v[149:150], v[149:150], v[155:156]
	v_mul_f64 v[155:156], v[22:23], s[38:39]
	v_fma_f64 v[131:132], v[57:58], s[26:27], v[131:132]
	v_add_f64 v[34:35], v[53:54], v[34:35]
	v_fma_f64 v[53:54], v[89:90], s[12:13], -v[4:5]
	v_add_f64 v[6:7], v[121:122], v[6:7]
	v_fma_f64 v[121:122], v[91:92], s[12:13], v[159:160]
	v_add_f64 v[117:118], v[125:126], v[117:118]
	v_mul_f64 v[125:126], v[20:21], s[38:39]
	v_fma_f64 v[159:160], v[91:92], s[12:13], -v[159:160]
	v_add_f64 v[44:45], v[44:45], v[119:120]
	v_mul_f64 v[161:162], v[16:17], s[30:31]
	v_fma_f64 v[4:5], v[89:90], s[12:13], v[4:5]
	v_fma_f64 v[119:120], v[89:90], s[8:9], -v[123:124]
	v_add_f64 v[0:1], v[167:168], v[0:1]
	v_add_f64 v[2:3], v[42:43], v[2:3]
	v_mul_f64 v[42:43], v[93:94], s[28:29]
	v_add_f64 v[32:33], v[163:164], v[32:33]
	v_fma_f64 v[163:164], v[24:25], s[14:15], -v[113:114]
	v_add_f64 v[127:128], v[153:154], v[127:128]
	v_fma_f64 v[153:154], v[26:27], s[14:15], v[115:116]
	v_add_f64 v[133:134], v[133:134], v[157:158]
	v_mul_f64 v[157:158], v[18:19], s[40:41]
	v_fma_f64 v[147:148], v[59:60], s[26:27], -v[147:148]
	v_add_f64 v[40:41], v[131:132], v[40:41]
	v_mul_f64 v[131:132], v[61:62], s[36:37]
	v_fma_f64 v[123:124], v[89:90], s[8:9], v[123:124]
	v_add_f64 v[34:35], v[53:54], v[34:35]
	v_mul_f64 v[53:54], v[83:84], s[36:37]
	v_fma_f64 v[171:172], v[57:58], s[12:13], -v[155:156]
	v_fma_f64 v[175:176], v[59:60], s[12:13], v[125:126]
	v_add_f64 v[121:122], v[121:122], v[6:7]
	v_add_f64 v[159:160], v[159:160], v[44:45]
	v_mul_f64 v[44:45], v[16:17], s[40:41]
	v_fma_f64 v[167:168], v[91:92], s[8:9], v[161:162]
	v_add_f64 v[117:118], v[4:5], v[117:118]
	v_add_f64 v[119:120], v[119:120], v[0:1]
	v_fma_f64 v[145:146], v[12:13], s[26:27], v[145:146]
	v_fma_f64 v[179:180], v[24:25], s[26:27], -v[42:43]
	v_fma_f64 v[137:138], v[14:15], s[26:27], -v[137:138]
	v_add_f64 v[4:5], v[163:164], v[32:33]
	v_add_f64 v[0:1], v[8:9], v[48:49]
	;; [unrolled: 1-line block ×3, first 2 shown]
	v_fma_f64 v[48:49], v[91:92], s[8:9], -v[161:162]
	v_fma_f64 v[153:154], v[89:90], s[14:15], -v[157:158]
	v_add_f64 v[32:33], v[147:148], v[129:130]
	v_mul_f64 v[129:130], v[85:86], s[30:31]
	v_mul_f64 v[61:62], v[61:62], s[28:29]
	v_add_f64 v[123:124], v[123:124], v[40:41]
	v_fma_f64 v[40:41], v[97:98], s[12:13], -v[131:132]
	v_fma_f64 v[127:128], v[10:11], s[12:13], v[53:54]
	v_add_f64 v[149:150], v[171:172], v[149:150]
	v_add_f64 v[133:134], v[175:176], v[133:134]
	v_mul_f64 v[83:84], v[83:84], s[28:29]
	v_mul_f64 v[147:148], v[87:88], s[30:31]
	v_fma_f64 v[161:162], v[91:92], s[14:15], v[44:45]
	v_fma_f64 v[125:126], v[59:60], s[12:13], -v[125:126]
	v_fma_f64 v[131:132], v[97:98], s[12:13], v[131:132]
	v_fma_f64 v[53:54], v[10:11], s[12:13], -v[53:54]
	v_mul_f64 v[85:86], v[85:86], s[34:35]
	v_add_f64 v[8:9], v[179:180], v[34:35]
	v_add_f64 v[34:35], v[145:146], v[135:136]
	;; [unrolled: 1-line block ×3, first 2 shown]
	v_fma_f64 v[143:144], v[57:58], s[12:13], v[155:156]
	v_mul_f64 v[87:88], v[87:88], s[34:35]
	v_fma_f64 v[55:56], v[97:98], s[8:9], v[55:56]
	s_mov_b32 s31, 0x3fea55e2
	v_mul_f64 v[177:178], v[95:96], s[28:29]
	v_add_f64 v[167:168], v[167:168], v[2:3]
	v_add_f64 v[2:3], v[28:29], v[50:51]
	v_mul_f64 v[28:29], v[93:94], s[34:35]
	v_add_f64 v[40:41], v[40:41], v[165:166]
	v_add_f64 v[36:37], v[127:128], v[36:37]
	v_fma_f64 v[127:128], v[12:13], s[8:9], -v[129:130]
	v_add_f64 v[149:150], v[153:154], v[149:150]
	v_fma_f64 v[153:154], v[97:98], s[26:27], -v[61:62]
	v_fma_f64 v[61:62], v[97:98], s[26:27], v[61:62]
	v_add_f64 v[133:134], v[161:162], v[133:134]
	v_fma_f64 v[161:162], v[10:11], s[26:27], v[83:84]
	v_fma_f64 v[83:84], v[10:11], s[26:27], -v[83:84]
	v_fma_f64 v[10:11], v[10:11], s[8:9], -v[99:100]
	v_fma_f64 v[163:164], v[14:15], s[8:9], v[147:148]
	v_add_f64 v[38:39], v[53:54], v[38:39]
	v_fma_f64 v[53:54], v[12:13], s[8:9], v[129:130]
	v_add_f64 v[125:126], v[125:126], v[137:138]
	v_add_f64 v[34:35], v[143:144], v[34:35]
	v_mul_f64 v[137:138], v[22:23], s[40:41]
	v_mul_f64 v[143:144], v[20:21], s[40:41]
	v_fma_f64 v[129:130], v[14:15], s[8:9], -v[147:148]
	v_fma_f64 v[147:148], v[12:13], s[18:19], -v[85:86]
	v_mul_f64 v[22:23], v[22:23], s[30:31]
	v_mul_f64 v[20:21], v[20:21], s[30:31]
	v_add_f64 v[30:31], v[55:56], v[30:31]
	v_mul_f64 v[50:51], v[95:96], s[34:35]
	v_mul_f64 v[97:98], v[93:94], s[30:31]
	v_add_f64 v[40:41], v[127:128], v[40:41]
	v_add_f64 v[127:128], v[131:132], v[141:142]
	;; [unrolled: 1-line block ×4, first 2 shown]
	v_mul_f64 v[99:100], v[95:96], s[30:31]
	v_add_f64 v[141:142], v[161:162], v[151:152]
	v_fma_f64 v[151:152], v[14:15], s[18:19], v[87:88]
	v_add_f64 v[61:62], v[83:84], v[173:174]
	v_fma_f64 v[83:84], v[12:13], s[18:19], v[85:86]
	v_fma_f64 v[85:86], v[14:15], s[18:19], -v[87:88]
	v_add_f64 v[10:11], v[10:11], v[139:140]
	v_fma_f64 v[12:13], v[12:13], s[12:13], v[101:102]
	v_fma_f64 v[14:15], v[14:15], s[12:13], -v[103:104]
	v_add_f64 v[36:37], v[163:164], v[36:37]
	v_fma_f64 v[87:88], v[57:58], s[14:15], -v[137:138]
	v_fma_f64 v[153:154], v[59:60], s[14:15], v[143:144]
	v_mul_f64 v[161:162], v[18:19], s[28:29]
	v_mul_f64 v[101:102], v[16:17], s[28:29]
	v_add_f64 v[38:39], v[129:130], v[38:39]
	v_fma_f64 v[103:104], v[57:58], s[14:15], v[137:138]
	v_fma_f64 v[137:138], v[57:58], s[8:9], -v[22:23]
	v_fma_f64 v[139:140], v[59:60], s[8:9], v[20:21]
	v_mul_f64 v[18:19], v[18:19], s[24:25]
	v_add_f64 v[53:54], v[53:54], v[127:128]
	v_fma_f64 v[127:128], v[59:60], s[14:15], -v[143:144]
	v_add_f64 v[129:130], v[147:148], v[131:132]
	v_mul_f64 v[16:17], v[16:17], s[24:25]
	v_fma_f64 v[22:23], v[57:58], s[8:9], v[22:23]
	v_add_f64 v[131:132], v[151:152], v[141:142]
	v_fma_f64 v[20:21], v[59:60], s[8:9], -v[20:21]
	v_add_f64 v[46:47], v[83:84], v[46:47]
	v_add_f64 v[61:62], v[85:86], v[61:62]
	v_fma_f64 v[55:56], v[89:90], s[14:15], v[157:158]
	v_add_f64 v[12:13], v[12:13], v[30:31]
	v_add_f64 v[10:11], v[14:15], v[10:11]
	v_fma_f64 v[14:15], v[57:58], s[16:17], v[105:106]
	v_fma_f64 v[30:31], v[59:60], s[16:17], -v[107:108]
	v_fma_f64 v[44:45], v[91:92], s[14:15], -v[44:45]
	v_add_f64 v[40:41], v[87:88], v[40:41]
	v_add_f64 v[36:37], v[153:154], v[36:37]
	v_fma_f64 v[83:84], v[89:90], s[26:27], -v[161:162]
	v_fma_f64 v[57:58], v[91:92], s[26:27], v[101:102]
	v_mul_f64 v[59:60], v[93:94], s[24:25]
	v_mul_f64 v[85:86], v[95:96], s[24:25]
	v_fma_f64 v[87:88], v[89:90], s[26:27], v[161:162]
	v_add_f64 v[53:54], v[103:104], v[53:54]
	v_add_f64 v[38:39], v[127:128], v[38:39]
	v_fma_f64 v[101:102], v[91:92], s[26:27], -v[101:102]
	v_add_f64 v[103:104], v[137:138], v[129:130]
	v_fma_f64 v[107:108], v[89:90], s[16:17], -v[18:19]
	v_add_f64 v[105:106], v[139:140], v[131:132]
	v_fma_f64 v[127:128], v[91:92], s[16:17], v[16:17]
	v_mul_f64 v[93:94], v[93:94], s[36:37]
	v_mul_f64 v[95:96], v[95:96], s[36:37]
	v_add_f64 v[22:23], v[22:23], v[46:47]
	v_add_f64 v[20:21], v[20:21], v[61:62]
	v_fma_f64 v[18:19], v[89:90], s[16:17], v[18:19]
	v_fma_f64 v[16:17], v[91:92], s[16:17], -v[16:17]
	v_add_f64 v[12:13], v[14:15], v[12:13]
	v_add_f64 v[10:11], v[30:31], v[10:11]
	v_fma_f64 v[14:15], v[89:90], s[18:19], v[109:110]
	v_fma_f64 v[30:31], v[91:92], s[18:19], -v[111:112]
	v_fma_f64 v[135:136], v[26:27], s[26:27], v[177:178]
	v_fma_f64 v[42:43], v[24:25], s[26:27], v[42:43]
	v_fma_f64 v[145:146], v[26:27], s[26:27], -v[177:178]
	v_fma_f64 v[155:156], v[24:25], s[18:19], -v[28:29]
	v_add_f64 v[48:49], v[48:49], v[32:33]
	v_fma_f64 v[32:33], v[26:27], s[18:19], v[50:51]
	v_fma_f64 v[28:29], v[24:25], s[18:19], v[28:29]
	v_fma_f64 v[46:47], v[24:25], s[8:9], -v[97:98]
	v_fma_f64 v[61:62], v[26:27], s[8:9], v[99:100]
	v_add_f64 v[34:35], v[55:56], v[34:35]
	v_add_f64 v[55:56], v[44:45], v[125:126]
	v_fma_f64 v[89:90], v[24:25], s[8:9], v[97:98]
	v_add_f64 v[83:84], v[83:84], v[40:41]
	v_add_f64 v[57:58], v[57:58], v[36:37]
	v_fma_f64 v[91:92], v[24:25], s[16:17], -v[59:60]
	v_fma_f64 v[97:98], v[26:27], s[16:17], v[85:86]
	v_add_f64 v[53:54], v[87:88], v[53:54]
	v_add_f64 v[38:39], v[101:102], v[38:39]
	v_fma_f64 v[59:60], v[24:25], s[16:17], v[59:60]
	v_add_f64 v[87:88], v[107:108], v[103:104]
	v_add_f64 v[101:102], v[127:128], v[105:106]
	v_fma_f64 v[103:104], v[24:25], s[12:13], -v[93:94]
	v_fma_f64 v[105:106], v[26:27], s[12:13], v[95:96]
	v_add_f64 v[107:108], v[18:19], v[22:23]
	v_add_f64 v[109:110], v[16:17], v[20:21]
	v_fma_f64 v[93:94], v[24:25], s[12:13], v[93:94]
	v_fma_f64 v[95:96], v[26:27], s[12:13], -v[95:96]
	v_fma_f64 v[85:86], v[26:27], s[16:17], -v[85:86]
	;; [unrolled: 1-line block ×4, first 2 shown]
	v_add_f64 v[111:112], v[14:15], v[12:13]
	v_add_f64 v[125:126], v[30:31], v[10:11]
	v_fma_f64 v[113:114], v[24:25], s[14:15], v[113:114]
	v_fma_f64 v[115:116], v[26:27], s[14:15], -v[115:116]
	v_add_f64 v[10:11], v[135:136], v[121:122]
	v_add_f64 v[40:41], v[42:43], v[117:118]
	;; [unrolled: 1-line block ×19, first 2 shown]
	v_mad_u32_u24 v54, 0xd0, v82, v52
	v_add_f64 v[48:49], v[113:114], v[111:112]
	v_add_f64 v[50:51], v[115:116], v[125:126]
	s_barrier
	buffer_gl0_inv
	ds_write_b128 v54, v[0:3]
	ds_write_b128 v54, v[4:7] offset:16
	ds_write_b128 v54, v[8:11] offset:32
	ds_write_b128 v54, v[16:19] offset:48
	ds_write_b128 v54, v[12:15] offset:64
	ds_write_b128 v54, v[20:23] offset:80
	ds_write_b128 v54, v[32:35] offset:96
	ds_write_b128 v54, v[24:27] offset:112
	ds_write_b128 v54, v[28:31] offset:128
	ds_write_b128 v54, v[36:39] offset:144
	ds_write_b128 v54, v[44:47] offset:160
	ds_write_b128 v54, v[40:43] offset:176
                                        ; kill: def $vgpr52_vgpr53 killed $sgpr0_sgpr1 killed $exec
                                        ; implicit-def: $vgpr62_vgpr63
                                        ; implicit-def: $vgpr58_vgpr59
	ds_write_b128 v54, v[48:51] offset:192
	s_waitcnt lgkmcnt(0)
	s_barrier
	buffer_gl0_inv
                                        ; implicit-def: $vgpr54_vgpr55
	s_and_saveexec_b32 s8, vcc_lo
	s_cbranch_execz .LBB0_16
; %bb.15:
	ds_read_b128 v[0:3], v80
	ds_read_b128 v[4:7], v81 offset:208
	ds_read_b128 v[8:11], v81 offset:416
	;; [unrolled: 1-line block ×15, first 2 shown]
.LBB0_16:
	s_or_b32 exec_lo, exec_lo, s8
	s_waitcnt lgkmcnt(0)
	s_barrier
	buffer_gl0_inv
	s_and_saveexec_b32 s16, vcc_lo
	s_cbranch_execz .LBB0_18
; %bb.17:
	v_add_nc_u32_e32 v83, -13, v82
	s_mov_b32 s8, 0x667f3bcd
	s_mov_b32 s9, 0x3fe6a09e
	;; [unrolled: 1-line block ×4, first 2 shown]
	v_cndmask_b32_e32 v82, v83, v82, vcc_lo
	v_mov_b32_e32 v83, 0
	s_mov_b32 s14, 0xcf328d46
	s_mov_b32 s15, 0x3fed906b
	;; [unrolled: 1-line block ×3, first 2 shown]
	v_mul_i32_i24_e32 v82, 15, v82
	s_mov_b32 s19, 0x3fd87de2
	s_mov_b32 s25, 0xbfed906b
	;; [unrolled: 1-line block ×3, first 2 shown]
	v_lshlrev_b64 v[82:83], 4, v[82:83]
	v_add_co_u32 v138, vcc_lo, s22, v82
	v_add_co_ci_u32_e32 v139, vcc_lo, s23, v83, vcc_lo
	s_mov_b32 s23, 0xbfd87de2
	s_mov_b32 s22, s18
	s_clause 0xe
	global_load_dwordx4 v[82:85], v[138:139], off offset:16
	global_load_dwordx4 v[86:89], v[138:139], off offset:144
	;; [unrolled: 1-line block ×8, first 2 shown]
	global_load_dwordx4 v[114:117], v[138:139], off
	global_load_dwordx4 v[118:121], v[138:139], off offset:128
	global_load_dwordx4 v[122:125], v[138:139], off offset:64
	;; [unrolled: 1-line block ×6, first 2 shown]
	s_waitcnt vmcnt(14)
	v_mul_f64 v[142:143], v[10:11], v[84:85]
	v_mul_f64 v[84:85], v[8:9], v[84:85]
	s_waitcnt vmcnt(13)
	v_mul_f64 v[144:145], v[46:47], v[88:89]
	v_mul_f64 v[88:89], v[44:45], v[88:89]
	s_waitcnt vmcnt(12)
	v_mul_f64 v[146:147], v[32:33], v[92:93]
	v_mul_f64 v[92:93], v[34:35], v[92:93]
	s_waitcnt vmcnt(11)
	v_mul_f64 v[148:149], v[60:61], v[96:97]
	v_mul_f64 v[96:97], v[62:63], v[96:97]
	s_waitcnt vmcnt(10)
	v_mul_f64 v[150:151], v[14:15], v[100:101]
	s_waitcnt vmcnt(9)
	v_mul_f64 v[152:153], v[50:51], v[104:105]
	;; [unrolled: 2-line block ×4, first 2 shown]
	v_mul_f64 v[112:113], v[16:17], v[112:113]
	s_waitcnt vmcnt(6)
	v_mul_f64 v[158:159], v[6:7], v[116:117]
	s_waitcnt vmcnt(5)
	;; [unrolled: 2-line block ×7, first 2 shown]
	v_mul_f64 v[170:171], v[56:57], v[140:141]
	v_mul_f64 v[132:133], v[40:41], v[132:133]
	;; [unrolled: 1-line block ×11, first 2 shown]
	v_fma_f64 v[8:9], v[8:9], v[82:83], -v[142:143]
	v_fma_f64 v[10:11], v[10:11], v[82:83], v[84:85]
	v_fma_f64 v[44:45], v[44:45], v[86:87], -v[144:145]
	v_fma_f64 v[46:47], v[46:47], v[86:87], v[88:89]
	v_fma_f64 v[34:35], v[34:35], v[90:91], v[146:147]
	v_fma_f64 v[32:33], v[32:33], v[90:91], -v[92:93]
	v_fma_f64 v[62:63], v[62:63], v[94:95], v[148:149]
	v_fma_f64 v[60:61], v[60:61], v[94:95], -v[96:97]
	v_fma_f64 v[16:17], v[16:17], v[110:111], -v[156:157]
	v_fma_f64 v[18:19], v[18:19], v[110:111], v[112:113]
	v_fma_f64 v[12:13], v[12:13], v[98:99], -v[150:151]
	;; [unrolled: 3-line block ×3, first 2 shown]
	v_fma_f64 v[36:37], v[36:37], v[118:119], -v[160:161]
	v_fma_f64 v[22:23], v[22:23], v[122:123], v[162:163]
	v_fma_f64 v[54:55], v[54:55], v[126:127], v[164:165]
	v_fma_f64 v[40:41], v[40:41], v[130:131], -v[166:167]
	v_fma_f64 v[26:27], v[26:27], v[134:135], v[168:169]
	v_fma_f64 v[58:59], v[58:59], v[138:139], v[170:171]
	;; [unrolled: 1-line block ×3, first 2 shown]
	v_fma_f64 v[24:25], v[24:25], v[134:135], -v[136:137]
	v_fma_f64 v[56:57], v[56:57], v[138:139], -v[140:141]
	v_fma_f64 v[6:7], v[6:7], v[114:115], v[116:117]
	v_fma_f64 v[38:39], v[38:39], v[118:119], v[120:121]
	v_fma_f64 v[20:21], v[20:21], v[122:123], -v[124:125]
	v_fma_f64 v[52:53], v[52:53], v[126:127], -v[128:129]
	;; [unrolled: 1-line block ×3, first 2 shown]
	v_fma_f64 v[14:15], v[14:15], v[98:99], v[100:101]
	v_fma_f64 v[50:51], v[50:51], v[102:103], v[104:105]
	v_add_f64 v[44:45], v[8:9], -v[44:45]
	v_add_f64 v[62:63], v[34:35], -v[62:63]
	;; [unrolled: 1-line block ×16, first 2 shown]
	v_fma_f64 v[8:9], v[8:9], 2.0, -v[44:45]
	v_add_f64 v[82:83], v[44:45], -v[62:63]
	v_fma_f64 v[10:11], v[10:11], 2.0, -v[46:47]
	v_add_f64 v[84:85], v[46:47], v[60:61]
	v_fma_f64 v[34:35], v[34:35], 2.0, -v[62:63]
	v_add_f64 v[86:87], v[30:31], v[48:49]
	v_fma_f64 v[2:3], v[2:3], 2.0, -v[30:31]
	v_fma_f64 v[4:5], v[4:5], 2.0, -v[36:37]
	v_add_f64 v[88:89], v[36:37], -v[54:55]
	v_fma_f64 v[16:17], v[16:17], 2.0, -v[40:41]
	v_fma_f64 v[12:13], v[12:13], 2.0, -v[48:49]
	v_add_f64 v[90:91], v[40:41], -v[58:59]
	v_fma_f64 v[32:33], v[32:33], 2.0, -v[60:61]
	v_fma_f64 v[18:19], v[18:19], 2.0, -v[42:43]
	v_add_f64 v[92:93], v[42:43], v[56:57]
	v_fma_f64 v[24:25], v[24:25], 2.0, -v[56:57]
	v_fma_f64 v[6:7], v[6:7], 2.0, -v[38:39]
	;; [unrolled: 1-line block ×3, first 2 shown]
	v_add_f64 v[94:95], v[38:39], v[52:53]
	v_fma_f64 v[20:21], v[20:21], 2.0, -v[52:53]
	v_fma_f64 v[0:1], v[0:1], 2.0, -v[28:29]
	v_add_f64 v[96:97], v[28:29], -v[50:51]
	v_fma_f64 v[14:15], v[14:15], 2.0, -v[50:51]
	v_fma_f64 v[26:27], v[26:27], 2.0, -v[58:59]
	;; [unrolled: 1-line block ×4, first 2 shown]
	v_add_f64 v[34:35], v[10:11], -v[34:35]
	v_fma_f64 v[30:31], v[30:31], 2.0, -v[86:87]
	v_fma_f64 v[48:49], v[84:85], s[8:9], v[86:87]
	v_fma_f64 v[36:37], v[36:37], 2.0, -v[88:89]
	v_fma_f64 v[40:41], v[40:41], 2.0, -v[90:91]
	v_add_f64 v[32:33], v[8:9], -v[32:33]
	v_fma_f64 v[52:53], v[90:91], s[8:9], v[88:89]
	v_fma_f64 v[42:43], v[42:43], 2.0, -v[92:93]
	v_add_f64 v[24:25], v[16:17], -v[24:25]
	v_add_f64 v[22:23], v[6:7], -v[22:23]
	v_fma_f64 v[38:39], v[38:39], 2.0, -v[94:95]
	v_add_f64 v[20:21], v[4:5], -v[20:21]
	v_add_f64 v[12:13], v[0:1], -v[12:13]
	v_fma_f64 v[28:29], v[28:29], 2.0, -v[96:97]
	v_add_f64 v[14:15], v[2:3], -v[14:15]
	v_fma_f64 v[50:51], v[92:93], s[8:9], v[94:95]
	v_add_f64 v[26:27], v[18:19], -v[26:27]
	v_fma_f64 v[54:55], v[82:83], s[8:9], v[96:97]
	v_fma_f64 v[10:11], v[10:11], 2.0, -v[34:35]
	v_fma_f64 v[56:57], v[46:47], s[12:13], v[30:31]
	v_fma_f64 v[48:49], v[82:83], s[8:9], v[48:49]
	;; [unrolled: 1-line block ×3, first 2 shown]
	v_fma_f64 v[8:9], v[8:9], 2.0, -v[32:33]
	v_fma_f64 v[52:53], v[92:93], s[12:13], v[52:53]
	v_fma_f64 v[16:17], v[16:17], 2.0, -v[24:25]
	v_add_f64 v[24:25], v[22:23], v[24:25]
	v_fma_f64 v[60:61], v[42:43], s[12:13], v[38:39]
	v_fma_f64 v[4:5], v[4:5], 2.0, -v[20:21]
	v_fma_f64 v[0:1], v[0:1], 2.0, -v[12:13]
	v_fma_f64 v[62:63], v[44:45], s[12:13], v[28:29]
	v_fma_f64 v[2:3], v[2:3], 2.0, -v[14:15]
	v_fma_f64 v[50:51], v[90:91], s[8:9], v[50:51]
	v_add_f64 v[32:33], v[14:15], v[32:33]
	v_fma_f64 v[6:7], v[6:7], 2.0, -v[22:23]
	v_fma_f64 v[18:19], v[18:19], 2.0, -v[26:27]
	v_add_f64 v[26:27], v[20:21], -v[26:27]
	v_add_f64 v[82:83], v[12:13], -v[34:35]
	v_fma_f64 v[54:55], v[84:85], s[12:13], v[54:55]
	v_fma_f64 v[44:45], v[44:45], s[8:9], v[56:57]
	v_fma_f64 v[56:57], v[86:87], 2.0, -v[48:49]
	v_fma_f64 v[34:35], v[42:43], s[12:13], v[58:59]
	v_fma_f64 v[40:41], v[40:41], s[8:9], v[60:61]
	;; [unrolled: 1-line block ×3, first 2 shown]
	v_add_f64 v[42:43], v[2:3], -v[10:11]
	v_add_f64 v[10:11], v[4:5], -v[16:17]
	;; [unrolled: 1-line block ×3, first 2 shown]
	v_fma_f64 v[16:17], v[94:95], 2.0, -v[50:51]
	v_fma_f64 v[58:59], v[14:15], 2.0, -v[32:33]
	;; [unrolled: 1-line block ×3, first 2 shown]
	v_add_f64 v[8:9], v[6:7], -v[18:19]
	v_fma_f64 v[20:21], v[20:21], 2.0, -v[26:27]
	v_fma_f64 v[86:87], v[12:13], 2.0, -v[82:83]
	;; [unrolled: 1-line block ×6, first 2 shown]
	v_fma_f64 v[14:15], v[24:25], s[8:9], v[32:33]
	v_fma_f64 v[12:13], v[50:51], s[14:15], v[48:49]
	;; [unrolled: 1-line block ×3, first 2 shown]
	v_fma_f64 v[36:37], v[38:39], 2.0, -v[40:41]
	v_fma_f64 v[38:39], v[40:41], s[18:19], v[44:45]
	v_fma_f64 v[90:91], v[28:29], 2.0, -v[60:61]
	v_fma_f64 v[28:29], v[26:27], s[8:9], v[82:83]
	v_fma_f64 v[96:97], v[2:3], 2.0, -v[42:43]
	v_fma_f64 v[100:101], v[0:1], 2.0, -v[46:47]
	v_fma_f64 v[92:93], v[16:17], s[22:23], v[56:57]
	v_fma_f64 v[102:103], v[4:5], 2.0, -v[10:11]
	v_fma_f64 v[94:95], v[62:63], s[12:13], v[58:59]
	;; [unrolled: 2-line block ×3, first 2 shown]
	v_fma_f64 v[104:105], v[20:21], s[12:13], v[86:87]
	v_add_f64 v[10:11], v[42:43], v[10:11]
	v_fma_f64 v[106:107], v[18:19], s[22:23], v[84:85]
	v_add_f64 v[8:9], v[46:47], -v[8:9]
	v_fma_f64 v[6:7], v[26:27], s[8:9], v[14:15]
	v_fma_f64 v[2:3], v[52:53], s[18:19], v[12:13]
	v_fma_f64 v[0:1], v[50:51], s[22:23], v[22:23]
	v_fma_f64 v[110:111], v[36:37], s[24:25], v[88:89]
	v_fma_f64 v[14:15], v[34:35], s[14:15], v[38:39]
	v_fma_f64 v[112:113], v[30:31], s[24:25], v[90:91]
	v_fma_f64 v[4:5], v[24:25], s[12:13], v[28:29]
	v_fma_f64 v[18:19], v[18:19], s[14:15], v[92:93]
	v_add_f64 v[24:25], v[100:101], -v[102:103]
	v_fma_f64 v[22:23], v[20:21], s[8:9], v[94:95]
	v_add_f64 v[26:27], v[96:97], -v[98:99]
	v_fma_f64 v[12:13], v[40:41], s[24:25], v[108:109]
	v_fma_f64 v[20:21], v[62:63], s[12:13], v[104:105]
	v_fma_f64 v[42:43], v[42:43], 2.0, -v[10:11]
	v_fma_f64 v[16:17], v[16:17], s[24:25], v[106:107]
	v_fma_f64 v[40:41], v[46:47], 2.0, -v[8:9]
	v_fma_f64 v[38:39], v[32:33], 2.0, -v[6:7]
	v_fma_f64 v[34:35], v[48:49], 2.0, -v[2:3]
	v_fma_f64 v[32:33], v[54:55], 2.0, -v[0:1]
	v_fma_f64 v[30:31], v[30:31], s[18:19], v[110:111]
	v_fma_f64 v[46:47], v[44:45], 2.0, -v[14:15]
	v_fma_f64 v[28:29], v[36:37], s[22:23], v[112:113]
	v_fma_f64 v[36:37], v[82:83], 2.0, -v[4:5]
	v_fma_f64 v[50:51], v[56:57], 2.0, -v[18:19]
	;; [unrolled: 1-line block ×10, first 2 shown]
	ds_write_b128 v81, v[8:11] offset:2496
	ds_write_b128 v81, v[4:7] offset:2912
	;; [unrolled: 1-line block ×9, first 2 shown]
	ds_write_b128 v80, v[56:59]
	ds_write_b128 v81, v[52:55] offset:416
	ds_write_b128 v81, v[48:51] offset:624
	;; [unrolled: 1-line block ×6, first 2 shown]
.LBB0_18:
	s_or_b32 exec_lo, exec_lo, s16
	s_waitcnt lgkmcnt(0)
	s_barrier
	buffer_gl0_inv
	s_and_saveexec_b32 s8, s21
	s_cbranch_execz .LBB0_20
; %bb.19:
	v_mad_u64_u32 v[0:1], null, s2, v79, 0
	v_mad_u64_u32 v[2:3], null, s0, v75, 0
	;; [unrolled: 1-line block ×3, first 2 shown]
	s_mul_i32 s7, s7, s20
	s_mul_hi_u32 s8, s6, s20
	s_mul_i32 s2, s6, s20
	v_add3_u32 v25, 0, v78, v76
	v_mad_u64_u32 v[4:5], null, s3, v79, v[1:2]
	s_add_i32 s3, s8, s7
	v_mad_u64_u32 v[10:11], null, s0, v74, 0
	s_lshl_b64 s[2:3], s[2:3], 4
	v_mad_u64_u32 v[14:15], null, s0, v73, 0
	v_mad_u64_u32 v[5:6], null, s1, v75, v[3:4]
	v_mov_b32_e32 v1, v4
	v_mov_b32_e32 v6, v9
	s_add_u32 s6, s10, s2
	s_addc_u32 s7, s11, s3
	s_lshl_b64 s[2:3], s[4:5], 4
	v_lshlrev_b64 v[0:1], 4, v[0:1]
	v_mov_b32_e32 v3, v5
	v_mad_u64_u32 v[4:5], null, s1, v77, v[6:7]
	s_add_u32 s2, s6, s2
	s_addc_u32 s3, s7, s3
	v_lshlrev_b64 v[12:13], 4, v[2:3]
	v_add_co_u32 v26, vcc_lo, s2, v0
	v_add_co_ci_u32_e32 v27, vcc_lo, s3, v1, vcc_lo
	v_mov_b32_e32 v9, v4
	ds_read_b128 v[0:3], v25
	ds_read_b128 v[4:7], v25 offset:256
	v_add_co_u32 v12, vcc_lo, v26, v12
	v_add_co_ci_u32_e32 v13, vcc_lo, v27, v13, vcc_lo
	v_lshlrev_b64 v[8:9], 4, v[8:9]
	v_mad_u64_u32 v[16:17], null, s1, v74, v[11:12]
	v_mov_b32_e32 v11, v15
	v_add_co_u32 v8, vcc_lo, v26, v8
	v_mad_u64_u32 v[17:18], null, s1, v73, v[11:12]
	v_mad_u64_u32 v[18:19], null, s0, v72, 0
	v_add_co_ci_u32_e32 v9, vcc_lo, v27, v9, vcc_lo
	v_mov_b32_e32 v11, v16
	s_waitcnt lgkmcnt(1)
	global_store_dwordx4 v[12:13], v[0:3], off
	s_waitcnt lgkmcnt(0)
	global_store_dwordx4 v[8:9], v[4:7], off
	ds_read_b128 v[0:3], v25 offset:512
	ds_read_b128 v[4:7], v25 offset:768
	v_mad_u64_u32 v[12:13], null, s0, v71, 0
	v_lshlrev_b64 v[8:9], 4, v[10:11]
	v_mov_b32_e32 v10, v19
	v_mov_b32_e32 v15, v17
	v_mad_u64_u32 v[10:11], null, s1, v72, v[10:11]
	v_lshlrev_b64 v[14:15], 4, v[14:15]
	v_add_co_u32 v16, vcc_lo, v26, v8
	v_mov_b32_e32 v8, v13
	v_add_co_ci_u32_e32 v17, vcc_lo, v27, v9, vcc_lo
	v_mov_b32_e32 v19, v10
	v_add_co_u32 v13, vcc_lo, v26, v14
	v_mad_u64_u32 v[20:21], null, s1, v71, v[8:9]
	ds_read_b128 v[8:11], v25 offset:1024
	v_add_co_ci_u32_e32 v14, vcc_lo, v27, v15, vcc_lo
	v_mad_u64_u32 v[21:22], null, s0, v70, 0
	s_waitcnt lgkmcnt(2)
	global_store_dwordx4 v[16:17], v[0:3], off
	s_waitcnt lgkmcnt(1)
	global_store_dwordx4 v[13:14], v[4:7], off
	v_lshlrev_b64 v[4:5], 4, v[18:19]
	ds_read_b128 v[0:3], v25 offset:1280
	v_mov_b32_e32 v13, v20
	v_mad_u64_u32 v[14:15], null, s0, v69, 0
	v_mov_b32_e32 v6, v22
	v_add_co_u32 v4, vcc_lo, v26, v4
	v_add_co_ci_u32_e32 v5, vcc_lo, v27, v5, vcc_lo
	v_lshlrev_b64 v[12:13], 4, v[12:13]
	v_mad_u64_u32 v[6:7], null, s1, v70, v[6:7]
	s_waitcnt lgkmcnt(1)
	global_store_dwordx4 v[4:5], v[8:11], off
	v_mov_b32_e32 v4, v15
	v_add_co_u32 v7, vcc_lo, v26, v12
	v_add_co_ci_u32_e32 v8, vcc_lo, v27, v13, vcc_lo
	v_mad_u64_u32 v[12:13], null, s0, v68, 0
	v_mad_u64_u32 v[4:5], null, s1, v69, v[4:5]
	s_waitcnt lgkmcnt(0)
	global_store_dwordx4 v[7:8], v[0:3], off
	ds_read_b128 v[0:3], v25 offset:1536
	v_mov_b32_e32 v22, v6
	v_mov_b32_e32 v10, v13
	;; [unrolled: 1-line block ×3, first 2 shown]
	ds_read_b128 v[4:7], v25 offset:1792
	v_lshlrev_b64 v[8:9], 4, v[21:22]
	v_mad_u64_u32 v[18:19], null, s1, v68, v[10:11]
	v_lshlrev_b64 v[13:14], 4, v[14:15]
	v_mad_u64_u32 v[19:20], null, s0, v67, 0
	v_add_co_u32 v16, vcc_lo, v26, v8
	v_add_co_ci_u32_e32 v17, vcc_lo, v27, v9, vcc_lo
	v_add_co_u32 v21, vcc_lo, v26, v13
	v_mov_b32_e32 v13, v18
	ds_read_b128 v[8:11], v25 offset:2048
	s_waitcnt lgkmcnt(2)
	global_store_dwordx4 v[16:17], v[0:3], off
	v_add_co_ci_u32_e32 v22, vcc_lo, v27, v14, vcc_lo
	v_lshlrev_b64 v[1:2], 4, v[12:13]
	v_mov_b32_e32 v0, v20
	v_mad_u64_u32 v[14:15], null, s0, v66, 0
	s_waitcnt lgkmcnt(1)
	global_store_dwordx4 v[21:22], v[4:7], off
	v_mad_u64_u32 v[16:17], null, s0, v64, 0
	v_mad_u64_u32 v[4:5], null, s1, v67, v[0:1]
	;; [unrolled: 1-line block ×3, first 2 shown]
	v_add_co_u32 v12, vcc_lo, v26, v1
	v_add_co_ci_u32_e32 v13, vcc_lo, v27, v2, vcc_lo
	ds_read_b128 v[0:3], v25 offset:2304
	v_mov_b32_e32 v20, v4
	v_mov_b32_e32 v4, v6
	s_waitcnt lgkmcnt(1)
	global_store_dwordx4 v[12:13], v[8:11], off
	v_mov_b32_e32 v6, v15
	v_lshlrev_b64 v[7:8], 4, v[19:20]
	v_mad_u64_u32 v[9:10], null, s1, v65, v[4:5]
	v_mov_b32_e32 v4, v17
	v_mad_u64_u32 v[10:11], null, s1, v66, v[6:7]
	v_mad_u64_u32 v[20:21], null, s1, v64, v[4:5]
	v_mov_b32_e32 v6, v9
	v_add_co_u32 v18, vcc_lo, v26, v7
	v_add_co_ci_u32_e32 v19, vcc_lo, v27, v8, vcc_lo
	v_mov_b32_e32 v15, v10
	v_lshlrev_b64 v[21:22], 4, v[5:6]
	ds_read_b128 v[4:7], v25 offset:2560
	ds_read_b128 v[8:11], v25 offset:2816
	v_mov_b32_e32 v17, v20
	v_lshlrev_b64 v[23:24], 4, v[14:15]
	ds_read_b128 v[12:15], v25 offset:3072
	v_add_co_u32 v20, vcc_lo, v26, v21
	v_lshlrev_b64 v[16:17], 4, v[16:17]
	v_add_co_ci_u32_e32 v21, vcc_lo, v27, v22, vcc_lo
	v_add_co_u32 v22, vcc_lo, v26, v23
	v_add_co_ci_u32_e32 v23, vcc_lo, v27, v24, vcc_lo
	v_add_co_u32 v16, vcc_lo, v26, v16
	v_add_co_ci_u32_e32 v17, vcc_lo, v27, v17, vcc_lo
	s_waitcnt lgkmcnt(3)
	global_store_dwordx4 v[18:19], v[0:3], off
	s_waitcnt lgkmcnt(2)
	global_store_dwordx4 v[20:21], v[4:7], off
	;; [unrolled: 2-line block ×4, first 2 shown]
.LBB0_20:
	s_endpgm
	.section	.rodata,"a",@progbits
	.p2align	6, 0x0
	.amdhsa_kernel fft_rtc_fwd_len208_factors_13_16_wgs_144_tpt_16_dp_op_CI_CI_sbcc
		.amdhsa_group_segment_fixed_size 0
		.amdhsa_private_segment_fixed_size 0
		.amdhsa_kernarg_size 112
		.amdhsa_user_sgpr_count 6
		.amdhsa_user_sgpr_private_segment_buffer 1
		.amdhsa_user_sgpr_dispatch_ptr 0
		.amdhsa_user_sgpr_queue_ptr 0
		.amdhsa_user_sgpr_kernarg_segment_ptr 1
		.amdhsa_user_sgpr_dispatch_id 0
		.amdhsa_user_sgpr_flat_scratch_init 0
		.amdhsa_user_sgpr_private_segment_size 0
		.amdhsa_wavefront_size32 1
		.amdhsa_uses_dynamic_stack 0
		.amdhsa_system_sgpr_private_segment_wavefront_offset 0
		.amdhsa_system_sgpr_workgroup_id_x 1
		.amdhsa_system_sgpr_workgroup_id_y 0
		.amdhsa_system_sgpr_workgroup_id_z 0
		.amdhsa_system_sgpr_workgroup_info 0
		.amdhsa_system_vgpr_workitem_id 0
		.amdhsa_next_free_vgpr 181
		.amdhsa_next_free_sgpr 57
		.amdhsa_reserve_vcc 1
		.amdhsa_reserve_flat_scratch 0
		.amdhsa_float_round_mode_32 0
		.amdhsa_float_round_mode_16_64 0
		.amdhsa_float_denorm_mode_32 3
		.amdhsa_float_denorm_mode_16_64 3
		.amdhsa_dx10_clamp 1
		.amdhsa_ieee_mode 1
		.amdhsa_fp16_overflow 0
		.amdhsa_workgroup_processor_mode 1
		.amdhsa_memory_ordered 1
		.amdhsa_forward_progress 0
		.amdhsa_shared_vgpr_count 0
		.amdhsa_exception_fp_ieee_invalid_op 0
		.amdhsa_exception_fp_denorm_src 0
		.amdhsa_exception_fp_ieee_div_zero 0
		.amdhsa_exception_fp_ieee_overflow 0
		.amdhsa_exception_fp_ieee_underflow 0
		.amdhsa_exception_fp_ieee_inexact 0
		.amdhsa_exception_int_div_zero 0
	.end_amdhsa_kernel
	.text
.Lfunc_end0:
	.size	fft_rtc_fwd_len208_factors_13_16_wgs_144_tpt_16_dp_op_CI_CI_sbcc, .Lfunc_end0-fft_rtc_fwd_len208_factors_13_16_wgs_144_tpt_16_dp_op_CI_CI_sbcc
                                        ; -- End function
	.section	.AMDGPU.csdata,"",@progbits
; Kernel info:
; codeLenInByte = 10056
; NumSgprs: 59
; NumVgprs: 181
; ScratchSize: 0
; MemoryBound: 0
; FloatMode: 240
; IeeeMode: 1
; LDSByteSize: 0 bytes/workgroup (compile time only)
; SGPRBlocks: 7
; VGPRBlocks: 22
; NumSGPRsForWavesPerEU: 59
; NumVGPRsForWavesPerEU: 181
; Occupancy: 5
; WaveLimiterHint : 1
; COMPUTE_PGM_RSRC2:SCRATCH_EN: 0
; COMPUTE_PGM_RSRC2:USER_SGPR: 6
; COMPUTE_PGM_RSRC2:TRAP_HANDLER: 0
; COMPUTE_PGM_RSRC2:TGID_X_EN: 1
; COMPUTE_PGM_RSRC2:TGID_Y_EN: 0
; COMPUTE_PGM_RSRC2:TGID_Z_EN: 0
; COMPUTE_PGM_RSRC2:TIDIG_COMP_CNT: 0
	.text
	.p2alignl 6, 3214868480
	.fill 48, 4, 3214868480
	.type	__hip_cuid_8d9c85278d50620,@object ; @__hip_cuid_8d9c85278d50620
	.section	.bss,"aw",@nobits
	.globl	__hip_cuid_8d9c85278d50620
__hip_cuid_8d9c85278d50620:
	.byte	0                               ; 0x0
	.size	__hip_cuid_8d9c85278d50620, 1

	.ident	"AMD clang version 19.0.0git (https://github.com/RadeonOpenCompute/llvm-project roc-6.4.0 25133 c7fe45cf4b819c5991fe208aaa96edf142730f1d)"
	.section	".note.GNU-stack","",@progbits
	.addrsig
	.addrsig_sym __hip_cuid_8d9c85278d50620
	.amdgpu_metadata
---
amdhsa.kernels:
  - .args:
      - .actual_access:  read_only
        .address_space:  global
        .offset:         0
        .size:           8
        .value_kind:     global_buffer
      - .address_space:  global
        .offset:         8
        .size:           8
        .value_kind:     global_buffer
      - .offset:         16
        .size:           8
        .value_kind:     by_value
      - .actual_access:  read_only
        .address_space:  global
        .offset:         24
        .size:           8
        .value_kind:     global_buffer
      - .actual_access:  read_only
        .address_space:  global
        .offset:         32
        .size:           8
        .value_kind:     global_buffer
      - .actual_access:  read_only
        .address_space:  global
        .offset:         40
        .size:           8
        .value_kind:     global_buffer
      - .offset:         48
        .size:           8
        .value_kind:     by_value
      - .actual_access:  read_only
        .address_space:  global
        .offset:         56
        .size:           8
        .value_kind:     global_buffer
      - .actual_access:  read_only
        .address_space:  global
        .offset:         64
        .size:           8
        .value_kind:     global_buffer
      - .offset:         72
        .size:           4
        .value_kind:     by_value
      - .actual_access:  read_only
        .address_space:  global
        .offset:         80
        .size:           8
        .value_kind:     global_buffer
      - .actual_access:  read_only
        .address_space:  global
        .offset:         88
        .size:           8
        .value_kind:     global_buffer
      - .actual_access:  read_only
        .address_space:  global
        .offset:         96
        .size:           8
        .value_kind:     global_buffer
      - .actual_access:  write_only
        .address_space:  global
        .offset:         104
        .size:           8
        .value_kind:     global_buffer
    .group_segment_fixed_size: 0
    .kernarg_segment_align: 8
    .kernarg_segment_size: 112
    .language:       OpenCL C
    .language_version:
      - 2
      - 0
    .max_flat_workgroup_size: 144
    .name:           fft_rtc_fwd_len208_factors_13_16_wgs_144_tpt_16_dp_op_CI_CI_sbcc
    .private_segment_fixed_size: 0
    .sgpr_count:     59
    .sgpr_spill_count: 0
    .symbol:         fft_rtc_fwd_len208_factors_13_16_wgs_144_tpt_16_dp_op_CI_CI_sbcc.kd
    .uniform_work_group_size: 1
    .uses_dynamic_stack: false
    .vgpr_count:     181
    .vgpr_spill_count: 0
    .wavefront_size: 32
    .workgroup_processor_mode: 1
amdhsa.target:   amdgcn-amd-amdhsa--gfx1030
amdhsa.version:
  - 1
  - 2
...

	.end_amdgpu_metadata
